;; amdgpu-corpus repo=ROCm/rocFFT kind=compiled arch=gfx1030 opt=O3
	.text
	.amdgcn_target "amdgcn-amd-amdhsa--gfx1030"
	.amdhsa_code_object_version 6
	.protected	fft_rtc_fwd_len234_factors_13_9_2_wgs_52_tpt_26_dp_op_CI_CI_unitstride_sbrr_dirReg ; -- Begin function fft_rtc_fwd_len234_factors_13_9_2_wgs_52_tpt_26_dp_op_CI_CI_unitstride_sbrr_dirReg
	.globl	fft_rtc_fwd_len234_factors_13_9_2_wgs_52_tpt_26_dp_op_CI_CI_unitstride_sbrr_dirReg
	.p2align	8
	.type	fft_rtc_fwd_len234_factors_13_9_2_wgs_52_tpt_26_dp_op_CI_CI_unitstride_sbrr_dirReg,@function
fft_rtc_fwd_len234_factors_13_9_2_wgs_52_tpt_26_dp_op_CI_CI_unitstride_sbrr_dirReg: ; @fft_rtc_fwd_len234_factors_13_9_2_wgs_52_tpt_26_dp_op_CI_CI_unitstride_sbrr_dirReg
; %bb.0:
	s_clause 0x2
	s_load_dwordx4 s[12:15], s[4:5], 0x0
	s_load_dwordx4 s[8:11], s[4:5], 0x58
	;; [unrolled: 1-line block ×3, first 2 shown]
	v_mul_u32_u24_e32 v1, 0x9d9, v0
	v_mov_b32_e32 v3, 0
	v_lshrrev_b32_e32 v7, 16, v1
	v_mov_b32_e32 v1, 0
	v_mov_b32_e32 v6, v3
	v_mov_b32_e32 v2, 0
	v_lshl_add_u32 v5, s6, 1, v7
	s_waitcnt lgkmcnt(0)
	v_cmp_lt_u64_e64 s0, s[14:15], 2
	s_and_b32 vcc_lo, exec_lo, s0
	s_cbranch_vccnz .LBB0_8
; %bb.1:
	s_load_dwordx2 s[0:1], s[4:5], 0x10
	v_mov_b32_e32 v1, 0
	v_mov_b32_e32 v2, 0
	s_add_u32 s2, s18, 8
	s_addc_u32 s3, s19, 0
	s_add_u32 s6, s16, 8
	s_addc_u32 s7, s17, 0
	v_mov_b32_e32 v57, v2
	v_mov_b32_e32 v56, v1
	s_mov_b64 s[22:23], 1
	s_waitcnt lgkmcnt(0)
	s_add_u32 s20, s0, 8
	s_addc_u32 s21, s1, 0
.LBB0_2:                                ; =>This Inner Loop Header: Depth=1
	s_load_dwordx2 s[24:25], s[20:21], 0x0
                                        ; implicit-def: $vgpr58_vgpr59
	s_mov_b32 s0, exec_lo
	s_waitcnt lgkmcnt(0)
	v_or_b32_e32 v4, s25, v6
	v_cmpx_ne_u64_e32 0, v[3:4]
	s_xor_b32 s1, exec_lo, s0
	s_cbranch_execz .LBB0_4
; %bb.3:                                ;   in Loop: Header=BB0_2 Depth=1
	v_cvt_f32_u32_e32 v4, s24
	v_cvt_f32_u32_e32 v8, s25
	s_sub_u32 s0, 0, s24
	s_subb_u32 s26, 0, s25
	v_fmac_f32_e32 v4, 0x4f800000, v8
	v_rcp_f32_e32 v4, v4
	v_mul_f32_e32 v4, 0x5f7ffffc, v4
	v_mul_f32_e32 v8, 0x2f800000, v4
	v_trunc_f32_e32 v8, v8
	v_fmac_f32_e32 v4, 0xcf800000, v8
	v_cvt_u32_f32_e32 v8, v8
	v_cvt_u32_f32_e32 v4, v4
	v_mul_lo_u32 v9, s0, v8
	v_mul_hi_u32 v10, s0, v4
	v_mul_lo_u32 v11, s26, v4
	v_add_nc_u32_e32 v9, v10, v9
	v_mul_lo_u32 v10, s0, v4
	v_add_nc_u32_e32 v9, v9, v11
	v_mul_hi_u32 v11, v4, v10
	v_mul_lo_u32 v12, v4, v9
	v_mul_hi_u32 v13, v4, v9
	v_mul_hi_u32 v14, v8, v10
	v_mul_lo_u32 v10, v8, v10
	v_mul_hi_u32 v15, v8, v9
	v_mul_lo_u32 v9, v8, v9
	v_add_co_u32 v11, vcc_lo, v11, v12
	v_add_co_ci_u32_e32 v12, vcc_lo, 0, v13, vcc_lo
	v_add_co_u32 v10, vcc_lo, v11, v10
	v_add_co_ci_u32_e32 v10, vcc_lo, v12, v14, vcc_lo
	v_add_co_ci_u32_e32 v11, vcc_lo, 0, v15, vcc_lo
	v_add_co_u32 v9, vcc_lo, v10, v9
	v_add_co_ci_u32_e32 v10, vcc_lo, 0, v11, vcc_lo
	v_add_co_u32 v4, vcc_lo, v4, v9
	v_add_co_ci_u32_e32 v8, vcc_lo, v8, v10, vcc_lo
	v_mul_hi_u32 v9, s0, v4
	v_mul_lo_u32 v11, s26, v4
	v_mul_lo_u32 v10, s0, v8
	v_add_nc_u32_e32 v9, v9, v10
	v_mul_lo_u32 v10, s0, v4
	v_add_nc_u32_e32 v9, v9, v11
	v_mul_hi_u32 v11, v4, v10
	v_mul_lo_u32 v12, v4, v9
	v_mul_hi_u32 v13, v4, v9
	v_mul_hi_u32 v14, v8, v10
	v_mul_lo_u32 v10, v8, v10
	v_mul_hi_u32 v15, v8, v9
	v_mul_lo_u32 v9, v8, v9
	v_add_co_u32 v11, vcc_lo, v11, v12
	v_add_co_ci_u32_e32 v12, vcc_lo, 0, v13, vcc_lo
	v_add_co_u32 v10, vcc_lo, v11, v10
	v_add_co_ci_u32_e32 v10, vcc_lo, v12, v14, vcc_lo
	v_add_co_ci_u32_e32 v11, vcc_lo, 0, v15, vcc_lo
	v_add_co_u32 v9, vcc_lo, v10, v9
	v_add_co_ci_u32_e32 v10, vcc_lo, 0, v11, vcc_lo
	v_add_co_u32 v4, vcc_lo, v4, v9
	v_add_co_ci_u32_e32 v12, vcc_lo, v8, v10, vcc_lo
	v_mul_hi_u32 v14, v5, v4
	v_mad_u64_u32 v[10:11], null, v6, v4, 0
	v_mad_u64_u32 v[8:9], null, v5, v12, 0
	v_mad_u64_u32 v[12:13], null, v6, v12, 0
	v_add_co_u32 v4, vcc_lo, v14, v8
	v_add_co_ci_u32_e32 v8, vcc_lo, 0, v9, vcc_lo
	v_add_co_u32 v4, vcc_lo, v4, v10
	v_add_co_ci_u32_e32 v4, vcc_lo, v8, v11, vcc_lo
	v_add_co_ci_u32_e32 v8, vcc_lo, 0, v13, vcc_lo
	v_add_co_u32 v4, vcc_lo, v4, v12
	v_add_co_ci_u32_e32 v10, vcc_lo, 0, v8, vcc_lo
	v_mul_lo_u32 v11, s25, v4
	v_mad_u64_u32 v[8:9], null, s24, v4, 0
	v_mul_lo_u32 v12, s24, v10
	v_sub_co_u32 v8, vcc_lo, v5, v8
	v_add3_u32 v9, v9, v12, v11
	v_sub_nc_u32_e32 v11, v6, v9
	v_subrev_co_ci_u32_e64 v11, s0, s25, v11, vcc_lo
	v_add_co_u32 v12, s0, v4, 2
	v_add_co_ci_u32_e64 v13, s0, 0, v10, s0
	v_sub_co_u32 v14, s0, v8, s24
	v_sub_co_ci_u32_e32 v9, vcc_lo, v6, v9, vcc_lo
	v_subrev_co_ci_u32_e64 v11, s0, 0, v11, s0
	v_cmp_le_u32_e32 vcc_lo, s24, v14
	v_cmp_eq_u32_e64 s0, s25, v9
	v_cndmask_b32_e64 v14, 0, -1, vcc_lo
	v_cmp_le_u32_e32 vcc_lo, s25, v11
	v_cndmask_b32_e64 v15, 0, -1, vcc_lo
	v_cmp_le_u32_e32 vcc_lo, s24, v8
	;; [unrolled: 2-line block ×3, first 2 shown]
	v_cndmask_b32_e64 v16, 0, -1, vcc_lo
	v_cmp_eq_u32_e32 vcc_lo, s25, v11
	v_cndmask_b32_e64 v8, v16, v8, s0
	v_cndmask_b32_e32 v11, v15, v14, vcc_lo
	v_add_co_u32 v14, vcc_lo, v4, 1
	v_add_co_ci_u32_e32 v15, vcc_lo, 0, v10, vcc_lo
	v_cmp_ne_u32_e32 vcc_lo, 0, v11
	v_cndmask_b32_e32 v9, v15, v13, vcc_lo
	v_cndmask_b32_e32 v11, v14, v12, vcc_lo
	v_cmp_ne_u32_e32 vcc_lo, 0, v8
	v_cndmask_b32_e32 v59, v10, v9, vcc_lo
	v_cndmask_b32_e32 v58, v4, v11, vcc_lo
.LBB0_4:                                ;   in Loop: Header=BB0_2 Depth=1
	s_andn2_saveexec_b32 s0, s1
	s_cbranch_execz .LBB0_6
; %bb.5:                                ;   in Loop: Header=BB0_2 Depth=1
	v_cvt_f32_u32_e32 v4, s24
	s_sub_i32 s1, 0, s24
	v_mov_b32_e32 v59, v3
	v_rcp_iflag_f32_e32 v4, v4
	v_mul_f32_e32 v4, 0x4f7ffffe, v4
	v_cvt_u32_f32_e32 v4, v4
	v_mul_lo_u32 v8, s1, v4
	v_mul_hi_u32 v8, v4, v8
	v_add_nc_u32_e32 v4, v4, v8
	v_mul_hi_u32 v4, v5, v4
	v_mul_lo_u32 v8, v4, s24
	v_add_nc_u32_e32 v9, 1, v4
	v_sub_nc_u32_e32 v8, v5, v8
	v_subrev_nc_u32_e32 v10, s24, v8
	v_cmp_le_u32_e32 vcc_lo, s24, v8
	v_cndmask_b32_e32 v8, v8, v10, vcc_lo
	v_cndmask_b32_e32 v4, v4, v9, vcc_lo
	v_cmp_le_u32_e32 vcc_lo, s24, v8
	v_add_nc_u32_e32 v9, 1, v4
	v_cndmask_b32_e32 v58, v4, v9, vcc_lo
.LBB0_6:                                ;   in Loop: Header=BB0_2 Depth=1
	s_or_b32 exec_lo, exec_lo, s0
	v_mul_lo_u32 v4, v59, s24
	v_mul_lo_u32 v10, v58, s25
	s_load_dwordx2 s[0:1], s[6:7], 0x0
	v_mad_u64_u32 v[8:9], null, v58, s24, 0
	s_load_dwordx2 s[24:25], s[2:3], 0x0
	s_add_u32 s22, s22, 1
	s_addc_u32 s23, s23, 0
	s_add_u32 s2, s2, 8
	s_addc_u32 s3, s3, 0
	s_add_u32 s6, s6, 8
	v_add3_u32 v4, v9, v10, v4
	v_sub_co_u32 v5, vcc_lo, v5, v8
	s_addc_u32 s7, s7, 0
	s_add_u32 s20, s20, 8
	v_sub_co_ci_u32_e32 v4, vcc_lo, v6, v4, vcc_lo
	s_addc_u32 s21, s21, 0
	s_waitcnt lgkmcnt(0)
	v_mul_lo_u32 v6, s0, v4
	v_mul_lo_u32 v8, s1, v5
	v_mad_u64_u32 v[1:2], null, s0, v5, v[1:2]
	v_mul_lo_u32 v4, s24, v4
	v_mul_lo_u32 v9, s25, v5
	v_mad_u64_u32 v[56:57], null, s24, v5, v[56:57]
	v_cmp_ge_u64_e64 s0, s[22:23], s[14:15]
	v_add3_u32 v2, v8, v2, v6
	v_add3_u32 v57, v9, v57, v4
	s_and_b32 vcc_lo, exec_lo, s0
	s_cbranch_vccnz .LBB0_9
; %bb.7:                                ;   in Loop: Header=BB0_2 Depth=1
	v_mov_b32_e32 v5, v58
	v_mov_b32_e32 v6, v59
	s_branch .LBB0_2
.LBB0_8:
	v_mov_b32_e32 v57, v2
	v_mov_b32_e32 v59, v6
	;; [unrolled: 1-line block ×4, first 2 shown]
.LBB0_9:
	s_load_dwordx2 s[0:1], s[4:5], 0x28
	v_and_b32_e32 v4, 1, v7
	v_mul_hi_u32 v3, 0x9d89d8a, v0
	s_lshl_b64 s[4:5], s[14:15], 3
                                        ; implicit-def: $vgpr60
	s_add_u32 s2, s18, s4
	s_addc_u32 s3, s19, s5
	s_waitcnt lgkmcnt(0)
	v_cmp_gt_u64_e32 vcc_lo, s[0:1], v[58:59]
	v_cmp_le_u64_e64 s1, s[0:1], v[58:59]
	v_cmp_eq_u32_e64 s0, 1, v4
	s_and_saveexec_b32 s6, s1
	s_xor_b32 s1, exec_lo, s6
; %bb.10:
	v_mul_u32_u24_e32 v1, 26, v3
                                        ; implicit-def: $vgpr3
	v_sub_nc_u32_e32 v60, v0, v1
                                        ; implicit-def: $vgpr0
                                        ; implicit-def: $vgpr1_vgpr2
; %bb.11:
	s_or_saveexec_b32 s1, s1
	v_cndmask_b32_e64 v134, 0, 0xea, s0
	v_lshlrev_b32_e32 v137, 4, v134
	s_xor_b32 exec_lo, exec_lo, s1
	s_cbranch_execz .LBB0_13
; %bb.12:
	s_add_u32 s4, s16, s4
	s_addc_u32 s5, s17, s5
	v_lshlrev_b64 v[1:2], 4, v[1:2]
	s_load_dwordx2 s[4:5], s[4:5], 0x0
	s_waitcnt lgkmcnt(0)
	v_mul_lo_u32 v6, s5, v58
	v_mul_lo_u32 v7, s4, v59
	v_mad_u64_u32 v[4:5], null, s4, v58, 0
	v_add3_u32 v5, v5, v7, v6
	v_mul_u32_u24_e32 v6, 26, v3
	v_lshlrev_b64 v[3:4], 4, v[4:5]
	v_sub_nc_u32_e32 v60, v0, v6
	v_lshlrev_b32_e32 v36, 4, v60
	v_add_co_u32 v0, s0, s8, v3
	v_add_co_ci_u32_e64 v3, s0, s9, v4, s0
	v_add_co_u32 v0, s0, v0, v1
	v_add_co_ci_u32_e64 v1, s0, v3, v2, s0
	;; [unrolled: 2-line block ×3, first 2 shown]
	v_add3_u32 v36, 0, v137, v36
	v_add_co_u32 v32, s0, 0x800, v16
	v_add_co_ci_u32_e64 v33, s0, 0, v17, s0
	s_clause 0x8
	global_load_dwordx4 v[0:3], v[16:17], off
	global_load_dwordx4 v[4:7], v[16:17], off offset:416
	global_load_dwordx4 v[8:11], v[16:17], off offset:832
	;; [unrolled: 1-line block ×8, first 2 shown]
	s_waitcnt vmcnt(8)
	ds_write_b128 v36, v[0:3]
	s_waitcnt vmcnt(7)
	ds_write_b128 v36, v[4:7] offset:416
	s_waitcnt vmcnt(6)
	ds_write_b128 v36, v[8:11] offset:832
	;; [unrolled: 2-line block ×8, first 2 shown]
.LBB0_13:
	s_or_b32 exec_lo, exec_lo, s1
	v_lshlrev_b32_e32 v0, 4, v60
	s_waitcnt lgkmcnt(0)
	s_barrier
	buffer_gl0_inv
	v_add_nc_u32_e32 v136, 0, v137
	v_add_nc_u32_e32 v135, 0, v0
	s_mov_b32 s6, 0x2ef20147
	s_mov_b32 s7, 0xbfedeba7
	;; [unrolled: 1-line block ×3, first 2 shown]
	v_add_nc_u32_e32 v138, v136, v0
	v_add_nc_u32_e32 v133, v135, v137
	s_mov_b32 s4, 0x24c2f84
	s_mov_b32 s9, 0xbfd6b1d8
	;; [unrolled: 1-line block ×4, first 2 shown]
	ds_read_b128 v[4:7], v133 offset:3456
	ds_read_b128 v[52:55], v133 offset:288
	;; [unrolled: 1-line block ×3, first 2 shown]
	ds_read_b128 v[36:39], v138
	ds_read_b128 v[48:51], v133 offset:576
	ds_read_b128 v[44:47], v133 offset:864
	ds_read_b128 v[12:15], v133 offset:2880
	ds_read_b128 v[16:19], v133 offset:2592
	ds_read_b128 v[40:43], v133 offset:1152
	s_mov_b32 s16, 0x4267c47c
	s_mov_b32 s15, 0xbfe7f3cc
	;; [unrolled: 1-line block ×3, first 2 shown]
	ds_read_b128 v[28:31], v133 offset:1440
	ds_read_b128 v[20:23], v133 offset:2304
	s_mov_b32 s18, 0xe00740e9
	s_mov_b32 s20, 0x66966769
	;; [unrolled: 1-line block ×4, first 2 shown]
	ds_read_b128 v[32:35], v133 offset:1728
	ds_read_b128 v[24:27], v133 offset:2016
	s_mov_b32 s26, 0xebaa3ed8
	s_mov_b32 s22, 0x4bc48dbf
	;; [unrolled: 1-line block ×6, first 2 shown]
	s_waitcnt lgkmcnt(11)
	v_add_f64 v[125:126], v[54:55], -v[6:7]
	v_add_f64 v[121:122], v[52:53], -v[4:5]
	v_add_f64 v[123:124], v[52:53], v[4:5]
	s_waitcnt lgkmcnt(8)
	v_add_f64 v[69:70], v[50:51], -v[10:11]
	v_add_f64 v[131:132], v[54:55], v[6:7]
	v_add_f64 v[61:62], v[48:49], -v[8:9]
	v_add_f64 v[65:66], v[48:49], v[8:9]
	v_add_f64 v[91:92], v[50:51], v[10:11]
	s_waitcnt lgkmcnt(6)
	v_add_f64 v[71:72], v[46:47], -v[14:15]
	v_add_f64 v[63:64], v[44:45], -v[12:13]
	v_add_f64 v[75:76], v[44:45], v[12:13]
	v_add_f64 v[93:94], v[46:47], v[14:15]
	s_waitcnt lgkmcnt(4)
	v_add_f64 v[81:82], v[42:43], -v[18:19]
	;; [unrolled: 5-line block ×3, first 2 shown]
	v_add_f64 v[73:74], v[28:29], -v[20:21]
	v_add_f64 v[95:96], v[30:31], v[22:23]
	s_waitcnt lgkmcnt(0)
	v_add_f64 v[87:88], v[34:35], -v[26:27]
	s_mov_b32 s25, 0xbfef11f4
	s_mov_b32 s31, 0x3fea55e2
	v_mul_f64 v[127:128], v[125:126], s[6:7]
	v_mul_f64 v[129:130], v[121:122], s[6:7]
	s_mov_b32 s28, 0x1ea71119
	v_mul_f64 v[105:106], v[69:70], s[4:5]
	s_mov_b32 s29, 0x3fe22d96
	v_mul_f64 v[107:108], v[61:62], s[4:5]
	s_mov_b32 s33, exec_lo
	v_mul_f64 v[109:110], v[71:72], s[16:17]
	v_mul_f64 v[115:116], v[63:64], s[16:17]
	s_barrier
	buffer_gl0_inv
	v_mul_f64 v[113:114], v[81:82], s[20:21]
	v_mul_f64 v[119:120], v[67:68], s[20:21]
	;; [unrolled: 1-line block ×5, first 2 shown]
	v_fma_f64 v[0:1], v[123:124], s[8:9], v[127:128]
	v_fma_f64 v[2:3], v[131:132], s[8:9], -v[129:130]
	v_fma_f64 v[77:78], v[65:66], s[14:15], v[105:106]
	v_fma_f64 v[79:80], v[91:92], s[14:15], -v[107:108]
	;; [unrolled: 2-line block ×4, first 2 shown]
	v_fma_f64 v[145:146], v[95:96], s[24:25], -v[117:118]
	v_add_f64 v[0:1], v[36:37], v[0:1]
	v_add_f64 v[2:3], v[38:39], v[2:3]
	;; [unrolled: 1-line block ×5, first 2 shown]
	v_add_f64 v[77:78], v[32:33], -v[24:25]
	v_add_f64 v[0:1], v[83:84], v[0:1]
	v_add_f64 v[2:3], v[97:98], v[2:3]
	;; [unrolled: 1-line block ×4, first 2 shown]
	v_mul_f64 v[103:104], v[77:78], s[30:31]
	v_fma_f64 v[143:144], v[79:80], s[24:25], v[111:112]
	v_add_f64 v[0:1], v[139:140], v[0:1]
	v_add_f64 v[2:3], v[141:142], v[2:3]
	v_fma_f64 v[139:140], v[83:84], s[28:29], v[101:102]
	v_fma_f64 v[141:142], v[97:98], s[28:29], -v[103:104]
	v_add_f64 v[0:1], v[143:144], v[0:1]
	v_add_f64 v[2:3], v[145:146], v[2:3]
	;; [unrolled: 1-line block ×4, first 2 shown]
	v_cmpx_gt_u32_e32 18, v60
	s_cbranch_execz .LBB0_15
; %bb.14:
	s_mov_b32 s1, 0xbfcea1e5
	s_mov_b32 s0, s22
	v_mul_f64 v[139:140], v[131:132], s[24:25]
	v_mul_f64 v[141:142], v[125:126], s[0:1]
	;; [unrolled: 1-line block ×5, first 2 shown]
	s_mov_b32 s35, 0xbfddbe06
	s_mov_b32 s34, s16
	;; [unrolled: 1-line block ×4, first 2 shown]
	v_add_f64 v[54:55], v[38:39], v[54:55]
	v_add_f64 v[52:53], v[36:37], v[52:53]
	v_mul_f64 v[143:144], v[131:132], s[8:9]
	v_mul_f64 v[147:148], v[123:124], s[8:9]
	;; [unrolled: 1-line block ×8, first 2 shown]
	s_mov_b32 s37, 0xbfea55e2
	s_mov_b32 s36, s30
	;; [unrolled: 1-line block ×3, first 2 shown]
	v_fma_f64 v[157:158], v[121:122], s[22:23], v[139:140]
	v_fma_f64 v[161:162], v[123:124], s[24:25], v[141:142]
	v_fma_f64 v[139:140], v[121:122], s[0:1], v[139:140]
	v_fma_f64 v[177:178], v[121:122], s[4:5], v[145:146]
	v_fma_f64 v[185:186], v[61:62], s[34:35], v[155:156]
	v_fma_f64 v[187:188], v[65:66], s[18:19], v[159:160]
	s_mov_b32 s40, s20
	v_mul_f64 v[153:154], v[125:126], s[20:21]
	v_mul_f64 v[165:166], v[99:100], s[28:29]
	;; [unrolled: 1-line block ×6, first 2 shown]
	v_add_f64 v[50:51], v[54:55], v[50:51]
	v_add_f64 v[48:49], v[52:53], v[48:49]
	;; [unrolled: 1-line block ×3, first 2 shown]
	v_fma_f64 v[54:55], v[121:122], s[38:39], v[145:146]
	v_add_f64 v[127:128], v[147:148], -v[127:128]
	v_fma_f64 v[129:130], v[121:122], s[40:41], v[149:150]
	v_fma_f64 v[143:144], v[121:122], s[20:21], v[149:150]
	;; [unrolled: 1-line block ×4, first 2 shown]
	v_add_f64 v[157:158], v[38:39], v[157:158]
	v_add_f64 v[161:162], v[36:37], v[161:162]
	;; [unrolled: 1-line block ×4, first 2 shown]
	v_fma_f64 v[177:178], v[121:122], s[30:31], v[151:152]
	v_fma_f64 v[151:152], v[121:122], s[36:37], v[151:152]
	;; [unrolled: 1-line block ×3, first 2 shown]
	v_mul_f64 v[169:170], v[95:96], s[8:9]
	v_mul_f64 v[171:172], v[89:90], s[6:7]
	;; [unrolled: 1-line block ×3, first 2 shown]
	v_fma_f64 v[145:146], v[123:124], s[26:27], v[153:154]
	v_fma_f64 v[153:154], v[123:124], s[26:27], -v[153:154]
	v_fma_f64 v[175:176], v[61:62], s[40:41], v[175:176]
	v_add_f64 v[46:47], v[50:51], v[46:47]
	v_add_f64 v[44:45], v[48:49], v[44:45]
	v_fma_f64 v[48:49], v[123:124], s[28:29], v[189:190]
	v_fma_f64 v[50:51], v[123:124], s[28:29], -v[189:190]
	v_fma_f64 v[189:190], v[123:124], s[18:19], v[125:126]
	v_fma_f64 v[159:160], v[65:66], s[18:19], -v[159:160]
	v_add_f64 v[54:55], v[38:39], v[54:55]
	s_mov_b32 s43, 0x3fedeba7
	s_mov_b32 s42, s6
	v_add_f64 v[157:158], v[185:186], v[157:158]
	v_fma_f64 v[185:186], v[75:76], s[14:15], v[183:184]
	v_add_f64 v[161:162], v[187:188], v[161:162]
	v_fma_f64 v[187:188], v[121:122], s[16:17], v[131:132]
	v_fma_f64 v[121:122], v[121:122], s[34:35], v[131:132]
	v_fma_f64 v[131:132], v[123:124], s[24:25], -v[141:142]
	v_fma_f64 v[141:142], v[123:124], s[14:15], v[181:182]
	v_fma_f64 v[181:182], v[123:124], s[14:15], -v[181:182]
	v_fma_f64 v[123:124], v[123:124], s[18:19], -v[125:126]
	v_add_f64 v[139:140], v[147:148], v[139:140]
	v_fma_f64 v[147:148], v[67:68], s[36:37], v[165:166]
	v_add_f64 v[149:150], v[149:150], v[155:156]
	v_fma_f64 v[155:156], v[85:86], s[28:29], v[167:168]
	v_mul_f64 v[173:174], v[97:98], s[26:27]
	v_add_f64 v[52:53], v[38:39], v[52:53]
	v_add_f64 v[127:128], v[36:37], v[127:128]
	;; [unrolled: 1-line block ×9, first 2 shown]
	v_fma_f64 v[193:194], v[63:64], s[30:31], v[179:180]
	v_add_f64 v[161:162], v[185:186], v[161:162]
	v_add_f64 v[187:188], v[38:39], v[187:188]
	v_add_f64 v[38:39], v[38:39], v[121:122]
	v_add_f64 v[131:132], v[36:37], v[131:132]
	v_add_f64 v[141:142], v[36:37], v[141:142]
	v_add_f64 v[121:122], v[36:37], v[181:182]
	v_add_f64 v[48:49], v[36:37], v[48:49]
	v_add_f64 v[50:51], v[36:37], v[50:51]
	v_add_f64 v[181:182], v[36:37], v[189:190]
	v_add_f64 v[36:37], v[36:37], v[123:124]
	v_fma_f64 v[123:124], v[73:74], s[42:43], v[169:170]
	v_mul_f64 v[189:190], v[87:88], s[40:41]
	v_fma_f64 v[179:180], v[63:64], s[36:37], v[179:180]
	v_fma_f64 v[183:184], v[75:76], s[14:15], -v[183:184]
	v_add_f64 v[54:55], v[175:176], v[54:55]
	v_mul_f64 v[175:176], v[91:92], s[14:15]
	v_add_f64 v[40:41], v[44:45], v[40:41]
	v_mul_f64 v[44:45], v[65:66], s[14:15]
	v_add_f64 v[42:43], v[46:47], v[42:43]
	v_fma_f64 v[163:164], v[63:64], s[38:39], v[163:164]
	v_add_f64 v[147:148], v[147:148], v[157:158]
	v_mul_f64 v[157:158], v[99:100], s[24:25]
	v_add_f64 v[155:156], v[155:156], v[161:162]
	v_fma_f64 v[161:162], v[79:80], s[8:9], v[171:172]
	v_add_f64 v[149:150], v[193:194], v[149:150]
	v_add_f64 v[131:132], v[159:160], v[131:132]
	v_fma_f64 v[193:194], v[77:78], s[20:21], v[173:174]
	v_mul_f64 v[191:192], v[69:70], s[40:41]
	v_mul_f64 v[46:47], v[91:92], s[24:25]
	v_fma_f64 v[165:166], v[67:68], s[30:31], v[165:166]
	v_mul_f64 v[125:126], v[71:72], s[36:37]
	v_mul_f64 v[195:196], v[93:94], s[8:9]
	v_mul_f64 v[197:198], v[71:72], s[42:43]
	v_mul_f64 v[159:160], v[81:82], s[22:23]
	v_fma_f64 v[167:168], v[85:86], s[28:29], -v[167:168]
	v_fma_f64 v[169:170], v[73:74], s[6:7], v[169:170]
	v_add_f64 v[54:55], v[179:180], v[54:55]
	v_mul_f64 v[179:180], v[95:96], s[18:19]
	v_add_f64 v[107:108], v[107:108], v[175:176]
	v_mul_f64 v[175:176], v[75:76], s[18:19]
	v_add_f64 v[44:45], v[44:45], -v[105:106]
	v_add_f64 v[42:43], v[42:43], v[30:31]
	v_add_f64 v[123:124], v[123:124], v[147:148]
	v_fma_f64 v[147:148], v[67:68], s[0:1], v[157:158]
	v_fma_f64 v[157:158], v[67:68], s[22:23], v[157:158]
	v_add_f64 v[155:156], v[161:162], v[155:156]
	v_fma_f64 v[161:162], v[83:84], s[26:27], v[189:190]
	v_add_f64 v[131:132], v[183:184], v[131:132]
	v_mul_f64 v[183:184], v[93:94], s[18:19]
	v_add_f64 v[40:41], v[40:41], v[28:29]
	v_add_f64 v[139:140], v[163:164], v[139:140]
	v_mul_f64 v[163:164], v[69:70], s[0:1]
	v_fma_f64 v[185:186], v[65:66], s[26:27], v[191:192]
	v_fma_f64 v[191:192], v[65:66], s[26:27], -v[191:192]
	v_fma_f64 v[105:106], v[61:62], s[22:23], v[46:47]
	v_fma_f64 v[46:47], v[61:62], s[0:1], v[46:47]
	v_add_f64 v[52:53], v[107:108], v[52:53]
	v_fma_f64 v[107:108], v[73:74], s[16:17], v[179:180]
	v_add_f64 v[109:110], v[175:176], -v[109:110]
	v_add_f64 v[44:45], v[44:45], v[127:128]
	v_add_f64 v[30:31], v[193:194], v[123:124]
	;; [unrolled: 1-line block ×4, first 2 shown]
	v_fma_f64 v[147:148], v[73:74], s[34:35], v[179:180]
	v_add_f64 v[28:29], v[161:162], v[155:156]
	v_mul_f64 v[149:150], v[99:100], s[26:27]
	v_add_f64 v[115:116], v[115:116], v[183:184]
	v_mul_f64 v[155:156], v[85:86], s[26:27]
	v_add_f64 v[34:35], v[42:43], v[34:35]
	v_add_f64 v[32:33], v[40:41], v[32:33]
	;; [unrolled: 1-line block ×3, first 2 shown]
	v_fma_f64 v[165:166], v[65:66], s[24:25], v[163:164]
	v_add_f64 v[141:142], v[185:186], v[141:142]
	v_fma_f64 v[185:186], v[75:76], s[28:29], v[125:126]
	v_fma_f64 v[125:126], v[75:76], s[28:29], -v[125:126]
	v_add_f64 v[121:122], v[191:192], v[121:122]
	v_add_f64 v[105:106], v[105:106], v[129:130]
	v_mul_f64 v[129:130], v[99:100], s[18:19]
	v_add_f64 v[46:47], v[46:47], v[143:144]
	v_fma_f64 v[157:158], v[75:76], s[8:9], v[197:198]
	v_mul_f64 v[161:162], v[81:82], s[16:17]
	v_add_f64 v[44:45], v[109:110], v[44:45]
	v_fma_f64 v[127:128], v[63:64], s[6:7], v[195:196]
	v_add_f64 v[131:132], v[167:168], v[131:132]
	v_add_f64 v[54:55], v[107:108], v[54:55]
	;; [unrolled: 1-line block ×3, first 2 shown]
	v_mul_f64 v[123:124], v[95:96], s[24:25]
	v_add_f64 v[119:120], v[119:120], v[149:150]
	v_add_f64 v[52:53], v[115:116], v[52:53]
	v_mul_f64 v[107:108], v[79:80], s[24:25]
	v_mul_f64 v[115:116], v[91:92], s[8:9]
	v_add_f64 v[113:114], v[155:156], -v[113:114]
	v_add_f64 v[26:27], v[34:35], v[26:27]
	v_add_f64 v[24:25], v[32:33], v[24:25]
	v_fma_f64 v[32:33], v[65:66], s[24:25], -v[163:164]
	v_fma_f64 v[34:35], v[63:64], s[42:43], v[195:196]
	v_add_f64 v[145:146], v[165:166], v[145:146]
	v_add_f64 v[42:43], v[125:126], v[121:122]
	v_mul_f64 v[165:166], v[89:90], s[16:17]
	v_fma_f64 v[125:126], v[67:68], s[34:35], v[129:130]
	v_fma_f64 v[121:122], v[85:86], s[24:25], -v[159:160]
	v_fma_f64 v[109:110], v[79:80], s[8:9], -v[171:172]
	v_fma_f64 v[147:148], v[85:86], s[18:19], v[161:162]
	v_mul_f64 v[149:150], v[89:90], s[36:37]
	v_mul_f64 v[143:144], v[83:84], s[28:29]
	v_add_f64 v[105:106], v[127:128], v[105:106]
	v_mul_f64 v[127:128], v[95:96], s[28:29]
	v_add_f64 v[141:142], v[185:186], v[141:142]
	v_add_f64 v[117:118], v[117:118], v[123:124]
	v_mul_f64 v[123:124], v[93:94], s[24:25]
	v_add_f64 v[52:53], v[119:120], v[52:53]
	v_mul_f64 v[119:120], v[97:98], s[28:29]
	v_add_f64 v[107:108], v[107:108], -v[111:112]
	v_fma_f64 v[111:112], v[61:62], s[42:43], v[115:116]
	v_add_f64 v[44:45], v[113:114], v[44:45]
	v_mul_f64 v[113:114], v[69:70], s[6:7]
	v_add_f64 v[22:23], v[26:27], v[22:23]
	v_mul_f64 v[26:27], v[91:92], s[28:29]
	v_add_f64 v[20:21], v[24:25], v[20:21]
	v_add_f64 v[24:25], v[32:33], v[153:154]
	v_fma_f64 v[32:33], v[75:76], s[8:9], -v[197:198]
	v_mul_f64 v[69:70], v[69:70], s[36:37]
	v_add_f64 v[34:35], v[34:35], v[46:47]
	v_fma_f64 v[46:47], v[67:68], s[16:17], v[129:130]
	v_mul_f64 v[93:94], v[93:94], s[26:27]
	v_add_f64 v[145:146], v[157:158], v[145:146]
	v_add_f64 v[42:43], v[121:122], v[42:43]
	v_fma_f64 v[121:122], v[79:80], s[18:19], -v[165:166]
	v_add_f64 v[109:110], v[109:110], v[131:132]
	v_add_f64 v[101:102], v[143:144], -v[101:102]
	v_mul_f64 v[143:144], v[95:96], s[26:27]
	v_add_f64 v[105:106], v[125:126], v[105:106]
	v_fma_f64 v[125:126], v[73:74], s[30:31], v[127:128]
	v_add_f64 v[91:92], v[103:104], v[119:120]
	v_mul_f64 v[95:96], v[95:96], s[14:15]
	v_add_f64 v[103:104], v[111:112], v[177:178]
	v_fma_f64 v[111:112], v[63:64], s[22:23], v[123:124]
	v_fma_f64 v[119:120], v[65:66], s[8:9], v[113:114]
	v_add_f64 v[44:45], v[107:108], v[44:45]
	v_fma_f64 v[107:108], v[61:62], s[6:7], v[115:116]
	v_mul_f64 v[115:116], v[71:72], s[0:1]
	v_fma_f64 v[113:114], v[65:66], s[8:9], -v[113:114]
	v_fma_f64 v[129:130], v[61:62], s[36:37], v[26:27]
	v_add_f64 v[18:19], v[22:23], v[18:19]
	v_add_f64 v[16:17], v[20:21], v[16:17]
	;; [unrolled: 1-line block ×3, first 2 shown]
	v_fma_f64 v[22:23], v[65:66], s[28:29], -v[69:70]
	v_mul_f64 v[24:25], v[71:72], s[20:21]
	v_fma_f64 v[26:27], v[61:62], s[30:31], v[26:27]
	v_fma_f64 v[65:66], v[65:66], s[28:29], v[69:70]
	v_mul_f64 v[69:70], v[99:100], s[14:15]
	v_mul_f64 v[99:100], v[99:100], s[8:9]
	v_add_f64 v[131:132], v[147:148], v[145:146]
	v_fma_f64 v[145:146], v[79:80], s[28:29], v[149:150]
	v_add_f64 v[42:43], v[121:122], v[42:43]
	v_fma_f64 v[185:186], v[85:86], s[24:25], v[159:160]
	v_add_f64 v[52:53], v[117:118], v[52:53]
	v_mul_f64 v[117:118], v[97:98], s[8:9]
	v_add_f64 v[61:62], v[111:112], v[103:104]
	v_add_f64 v[48:49], v[119:120], v[48:49]
	v_fma_f64 v[119:120], v[63:64], s[0:1], v[123:124]
	v_add_f64 v[107:108], v[107:108], v[151:152]
	v_fma_f64 v[111:112], v[75:76], s[24:25], v[115:116]
	v_add_f64 v[50:51], v[113:114], v[50:51]
	v_add_f64 v[38:39], v[129:130], v[38:39]
	v_fma_f64 v[123:124], v[63:64], s[20:21], v[93:94]
	v_fma_f64 v[115:116], v[75:76], s[24:25], -v[115:116]
	v_fma_f64 v[63:64], v[63:64], s[40:41], v[93:94]
	v_mul_f64 v[93:94], v[81:82], s[6:7]
	v_add_f64 v[22:23], v[22:23], v[36:37]
	v_fma_f64 v[36:37], v[75:76], s[26:27], -v[24:25]
	v_mul_f64 v[81:82], v[81:82], s[4:5]
	v_add_f64 v[26:27], v[26:27], v[187:188]
	v_fma_f64 v[24:25], v[75:76], s[26:27], v[24:25]
	v_add_f64 v[65:66], v[65:66], v[181:182]
	v_add_f64 v[121:122], v[145:146], v[131:132]
	v_fma_f64 v[131:132], v[85:86], s[18:19], -v[161:162]
	v_mul_f64 v[103:104], v[97:98], s[14:15]
	v_add_f64 v[14:15], v[18:19], v[14:15]
	v_add_f64 v[12:13], v[16:17], v[12:13]
	;; [unrolled: 1-line block ×3, first 2 shown]
	v_mul_f64 v[125:126], v[87:88], s[6:7]
	v_mul_f64 v[129:130], v[87:88], s[38:39]
	v_add_f64 v[107:108], v[119:120], v[107:108]
	v_add_f64 v[48:49], v[111:112], v[48:49]
	v_fma_f64 v[111:112], v[67:68], s[4:5], v[69:70]
	v_mul_f64 v[119:120], v[89:90], s[40:41]
	v_add_f64 v[38:39], v[123:124], v[38:39]
	v_fma_f64 v[123:124], v[67:68], s[6:7], v[99:100]
	v_add_f64 v[50:51], v[115:116], v[50:51]
	v_mul_f64 v[89:90], v[89:90], s[38:39]
	v_fma_f64 v[115:116], v[85:86], s[8:9], -v[93:94]
	v_add_f64 v[22:23], v[36:37], v[22:23]
	v_fma_f64 v[36:37], v[85:86], s[14:15], -v[81:82]
	v_fma_f64 v[69:70], v[67:68], s[38:39], v[69:70]
	v_fma_f64 v[81:82], v[85:86], s[14:15], v[81:82]
	;; [unrolled: 1-line block ×3, first 2 shown]
	v_add_f64 v[26:27], v[63:64], v[26:27]
	v_fma_f64 v[85:86], v[85:86], s[8:9], v[93:94]
	v_add_f64 v[24:25], v[24:25], v[65:66]
	v_fma_f64 v[93:94], v[73:74], s[40:41], v[143:144]
	v_mul_f64 v[63:64], v[97:98], s[18:19]
	v_mul_f64 v[65:66], v[87:88], s[16:17]
	;; [unrolled: 1-line block ×4, first 2 shown]
	v_add_f64 v[34:35], v[46:47], v[34:35]
	v_fma_f64 v[127:128], v[73:74], s[36:37], v[127:128]
	v_add_f64 v[107:108], v[111:112], v[107:108]
	v_fma_f64 v[111:112], v[79:80], s[26:27], -v[119:120]
	v_fma_f64 v[145:146], v[79:80], s[28:29], -v[149:150]
	v_add_f64 v[38:39], v[123:124], v[38:39]
	v_fma_f64 v[123:124], v[73:74], s[38:39], v[95:96]
	v_fma_f64 v[16:17], v[79:80], s[14:15], -v[89:90]
	v_add_f64 v[20:21], v[131:132], v[20:21]
	v_add_f64 v[18:19], v[115:116], v[22:23]
	;; [unrolled: 1-line block ×4, first 2 shown]
	v_fma_f64 v[155:156], v[79:80], s[18:19], v[165:166]
	v_fma_f64 v[36:37], v[73:74], s[20:21], v[143:144]
	v_add_f64 v[50:51], v[69:70], v[61:62]
	v_fma_f64 v[61:62], v[79:80], s[26:27], v[119:120]
	v_add_f64 v[48:49], v[81:82], v[48:49]
	;; [unrolled: 2-line block ×4, first 2 shown]
	v_fma_f64 v[75:76], v[77:78], s[4:5], v[103:104]
	v_fma_f64 v[73:74], v[77:78], s[38:39], v[103:104]
	v_add_f64 v[103:104], v[14:15], v[10:11]
	v_add_f64 v[85:86], v[93:94], v[107:108]
	;; [unrolled: 1-line block ×3, first 2 shown]
	v_fma_f64 v[93:94], v[77:78], s[0:1], v[97:98]
	v_fma_f64 v[95:96], v[83:84], s[24:25], -v[87:88]
	v_add_f64 v[38:39], v[123:124], v[38:39]
	v_add_f64 v[139:140], v[169:170], v[139:140]
	v_fma_f64 v[32:33], v[77:78], s[40:41], v[173:174]
	v_add_f64 v[16:17], v[16:17], v[18:19]
	v_add_f64 v[34:35], v[127:128], v[34:35]
	v_fma_f64 v[81:82], v[77:78], s[16:17], v[63:64]
	v_fma_f64 v[89:90], v[83:84], s[18:19], -v[65:66]
	v_add_f64 v[111:112], v[111:112], v[22:23]
	v_fma_f64 v[79:80], v[83:84], s[14:15], -v[129:130]
	v_add_f64 v[20:21], v[145:146], v[20:21]
	v_fma_f64 v[71:72], v[77:78], s[42:43], v[117:118]
	v_fma_f64 v[113:114], v[83:84], s[8:9], v[125:126]
	;; [unrolled: 1-line block ×3, first 2 shown]
	v_fma_f64 v[125:126], v[83:84], s[8:9], -v[125:126]
	v_fma_f64 v[46:47], v[83:84], s[26:27], -v[189:190]
	v_add_f64 v[141:142], v[155:156], v[141:142]
	v_fma_f64 v[99:100], v[83:84], s[14:15], v[129:130]
	v_fma_f64 v[63:64], v[77:78], s[34:35], v[63:64]
	v_add_f64 v[50:51], v[36:37], v[50:51]
	v_fma_f64 v[65:66], v[83:84], s[18:19], v[65:66]
	v_add_f64 v[48:49], v[61:62], v[48:49]
	;; [unrolled: 2-line block ×4, first 2 shown]
	v_add_f64 v[6:7], v[103:104], v[6:7]
	v_add_f64 v[4:5], v[107:108], v[4:5]
	v_add_f64 v[38:39], v[93:94], v[38:39]
	v_add_f64 v[36:37], v[95:96], v[16:17]
	v_add_f64 v[10:11], v[32:33], v[139:140]
	v_add_f64 v[26:27], v[73:74], v[34:35]
	v_add_f64 v[34:35], v[81:82], v[85:86]
	v_add_f64 v[32:33], v[89:90], v[111:112]
	v_add_f64 v[24:25], v[79:80], v[20:21]
	v_add_f64 v[22:23], v[91:92], v[52:53]
	v_add_f64 v[20:21], v[101:102], v[44:45]
	v_add_f64 v[18:19], v[117:118], v[54:55]
	v_add_f64 v[16:17], v[125:126], v[42:43]
	v_add_f64 v[8:9], v[46:47], v[109:110]
	v_add_f64 v[14:15], v[71:72], v[40:41]
	v_add_f64 v[12:13], v[113:114], v[141:142]
	v_add_f64 v[42:43], v[75:76], v[105:106]
	v_add_f64 v[40:41], v[99:100], v[121:122]
	v_add_f64 v[46:47], v[63:64], v[50:51]
	v_add_f64 v[44:45], v[65:66], v[48:49]
	v_add_f64 v[50:51], v[61:62], v[69:70]
	v_add_f64 v[48:49], v[77:78], v[67:68]
	v_mul_u32_u24_e32 v52, 0xc0, v60
	v_add3_u32 v52, v135, v52, v137
	ds_write_b128 v52, v[4:7]
	ds_write_b128 v52, v[36:39] offset:16
	ds_write_b128 v52, v[32:35] offset:32
	;; [unrolled: 1-line block ×12, first 2 shown]
.LBB0_15:
	s_or_b32 exec_lo, exec_lo, s33
	v_add_nc_u32_e32 v40, -13, v60
	v_cmp_gt_u32_e64 s0, 13, v60
	v_mov_b32_e32 v42, 0
	s_load_dwordx2 s[2:3], s[2:3], 0x0
	s_waitcnt lgkmcnt(0)
	s_barrier
	v_cndmask_b32_e64 v55, v40, v60, s0
	buffer_gl0_inv
	s_mov_b32 s6, 0x8c811c17
	s_mov_b32 s8, 0xa2cf5039
	;; [unrolled: 1-line block ×3, first 2 shown]
	v_lshlrev_b32_e32 v41, 3, v55
	s_mov_b32 s4, 0x523c161c
	s_mov_b32 s7, 0x3fef838b
	;; [unrolled: 1-line block ×4, first 2 shown]
	v_lshlrev_b64 v[4:5], 4, v[41:42]
	s_mov_b32 s15, 0x3fc63a1a
	v_add_co_u32 v32, s1, s12, v4
	v_add_co_ci_u32_e64 v33, s1, s13, v5, s1
	v_cmp_lt_u32_e64 s1, 12, v60
	s_clause 0x7
	global_load_dwordx4 v[4:7], v[32:33], off
	global_load_dwordx4 v[8:11], v[32:33], off offset:112
	global_load_dwordx4 v[12:15], v[32:33], off offset:48
	;; [unrolled: 1-line block ×7, first 2 shown]
	ds_read_b128 v[36:39], v133 offset:416
	ds_read_b128 v[43:46], v133 offset:3328
	ds_read_b128 v[47:50], v133 offset:1664
	ds_read_b128 v[51:54], v133 offset:2080
	ds_read_b128 v[61:64], v133 offset:832
	ds_read_b128 v[65:68], v133 offset:2912
	ds_read_b128 v[69:72], v133 offset:1248
	ds_read_b128 v[73:76], v133 offset:2496
	v_cndmask_b32_e64 v41, 0, 0x750, s1
	v_add_nc_u32_e32 v41, 0, v41
	s_waitcnt vmcnt(7) lgkmcnt(7)
	v_mul_f64 v[77:78], v[38:39], v[6:7]
	v_mul_f64 v[6:7], v[36:37], v[6:7]
	s_waitcnt vmcnt(6) lgkmcnt(6)
	v_mul_f64 v[79:80], v[45:46], v[10:11]
	v_mul_f64 v[10:11], v[43:44], v[10:11]
	;; [unrolled: 3-line block ×6, first 2 shown]
	v_fma_f64 v[36:37], v[36:37], v[4:5], -v[77:78]
	v_fma_f64 v[38:39], v[38:39], v[4:5], v[6:7]
	v_fma_f64 v[43:44], v[43:44], v[8:9], -v[79:80]
	v_fma_f64 v[8:9], v[45:46], v[8:9], v[10:11]
	;; [unrolled: 2-line block ×6, first 2 shown]
	s_waitcnt vmcnt(1) lgkmcnt(1)
	v_mul_f64 v[26:27], v[71:72], v[30:31]
	v_mul_f64 v[30:31], v[69:70], v[30:31]
	s_waitcnt vmcnt(0) lgkmcnt(0)
	v_mul_f64 v[45:46], v[75:76], v[34:35]
	v_mul_f64 v[34:35], v[73:74], v[34:35]
	ds_read_b128 v[4:7], v138
	s_waitcnt lgkmcnt(0)
	s_barrier
	buffer_gl0_inv
	v_add_f64 v[47:48], v[36:37], -v[43:44]
	v_add_f64 v[49:50], v[38:39], -v[8:9]
	v_add_f64 v[36:37], v[36:37], v[43:44]
	v_add_f64 v[8:9], v[38:39], v[8:9]
	;; [unrolled: 1-line block ×4, first 2 shown]
	v_add_f64 v[51:52], v[10:11], -v[14:15]
	v_add_f64 v[53:54], v[12:13], -v[16:17]
	v_add_f64 v[61:62], v[18:19], v[22:23]
	v_add_f64 v[63:64], v[20:21], v[24:25]
	v_fma_f64 v[26:27], v[69:70], v[28:29], -v[26:27]
	v_fma_f64 v[28:29], v[71:72], v[28:29], v[30:31]
	v_fma_f64 v[30:31], v[73:74], v[32:33], -v[45:46]
	v_fma_f64 v[32:33], v[75:76], v[32:33], v[34:35]
	v_add_f64 v[18:19], v[18:19], -v[22:23]
	v_add_f64 v[20:21], v[20:21], -v[24:25]
	v_mul_f64 v[22:23], v[47:48], s[4:5]
	v_mul_f64 v[24:25], v[49:50], s[4:5]
	v_fma_f64 v[34:35], v[36:37], s[8:9], v[4:5]
	v_fma_f64 v[45:46], v[8:9], s[8:9], v[6:7]
	s_mov_b32 s5, 0xbfe491b7
	v_fma_f64 v[65:66], v[38:39], s[8:9], v[4:5]
	v_fma_f64 v[67:68], v[43:44], s[8:9], v[6:7]
	v_mul_f64 v[69:70], v[51:52], s[6:7]
	v_mul_f64 v[71:72], v[53:54], s[6:7]
	v_fma_f64 v[73:74], v[61:62], s[8:9], v[4:5]
	v_fma_f64 v[75:76], v[63:64], s[8:9], v[6:7]
	v_mul_f64 v[77:78], v[53:54], s[4:5]
	v_mul_f64 v[79:80], v[51:52], s[4:5]
	v_add_f64 v[81:82], v[26:27], v[30:31]
	v_add_f64 v[83:84], v[28:29], v[32:33]
	;; [unrolled: 1-line block ×4, first 2 shown]
	v_add_f64 v[26:27], v[26:27], -v[30:31]
	v_add_f64 v[28:29], v[28:29], -v[32:33]
	s_mov_b32 s8, 0xe8584cab
	s_mov_b32 s9, 0x3febb67a
	v_fma_f64 v[22:23], v[18:19], s[6:7], v[22:23]
	v_fma_f64 v[24:25], v[20:21], s[6:7], v[24:25]
	;; [unrolled: 1-line block ×6, first 2 shown]
	v_fma_f64 v[65:66], v[18:19], s[4:5], -v[69:70]
	v_fma_f64 v[67:68], v[20:21], s[4:5], -v[71:72]
	v_fma_f64 v[69:70], v[38:39], s[14:15], v[73:74]
	v_fma_f64 v[71:72], v[43:44], s[14:15], v[75:76]
	;; [unrolled: 1-line block ×4, first 2 shown]
	v_add_f64 v[77:78], v[51:52], v[47:48]
	v_add_f64 v[79:80], v[53:54], v[49:50]
	;; [unrolled: 1-line block ×8, first 2 shown]
	s_mov_b32 s5, 0xbfebb67a
	s_mov_b32 s4, s8
	v_fma_f64 v[22:23], v[26:27], s[8:9], v[22:23]
	v_fma_f64 v[24:25], v[28:29], s[8:9], v[24:25]
	v_fma_f64 v[30:31], v[81:82], -0.5, v[30:31]
	v_fma_f64 v[32:33], v[83:84], -0.5, v[32:33]
	;; [unrolled: 1-line block ×4, first 2 shown]
	v_fma_f64 v[65:66], v[26:27], s[8:9], v[65:66]
	v_fma_f64 v[67:68], v[28:29], s[8:9], v[67:68]
	v_fma_f64 v[69:70], v[81:82], -0.5, v[69:70]
	v_fma_f64 v[71:72], v[83:84], -0.5, v[71:72]
	v_fma_f64 v[28:29], v[28:29], s[4:5], v[73:74]
	v_fma_f64 v[26:27], v[26:27], s[4:5], v[75:76]
	v_add_f64 v[73:74], v[77:78], -v[18:19]
	v_add_f64 v[75:76], v[79:80], -v[20:21]
	s_mov_b32 s6, 0x748a0bf8
	v_fma_f64 v[77:78], v[93:94], -0.5, v[89:90]
	s_mov_b32 s14, 0x42522d1b
	v_add_f64 v[10:11], v[10:11], v[85:86]
	v_add_f64 v[12:13], v[12:13], v[87:88]
	s_mov_b32 s7, 0x3fd5e3a8
	s_mov_b32 s15, 0xbfee11f6
	v_fma_f64 v[79:80], v[95:96], -0.5, v[91:92]
	v_fma_f64 v[51:52], v[51:52], s[6:7], v[22:23]
	v_fma_f64 v[53:54], v[53:54], s[6:7], v[24:25]
	;; [unrolled: 1-line block ×12, first 2 shown]
	v_mul_f64 v[26:27], v[73:74], s[8:9]
	v_mul_f64 v[28:29], v[75:76], s[8:9]
	v_fma_f64 v[8:9], v[75:76], s[8:9], v[77:78]
	v_add_f64 v[49:50], v[14:15], v[10:11]
	v_add_f64 v[61:62], v[16:17], v[12:13]
	v_fma_f64 v[10:11], v[73:74], s[4:5], v[79:80]
	v_add_f64 v[12:13], v[53:54], v[22:23]
	v_add_f64 v[14:15], v[24:25], -v[51:52]
	v_add_f64 v[16:17], v[38:39], v[36:37]
	v_add_f64 v[18:19], v[43:44], -v[34:35]
	;; [unrolled: 2-line block ×3, first 2 shown]
	v_lshlrev_b32_e32 v43, 4, v55
	v_fma_f64 v[24:25], v[28:29], -2.0, v[8:9]
	v_add_f64 v[28:29], v[4:5], v[49:50]
	v_add_f64 v[30:31], v[6:7], v[61:62]
	v_add3_u32 v41, v41, v43, v137
	v_fma_f64 v[26:27], v[26:27], 2.0, v[10:11]
	v_fma_f64 v[4:5], v[53:54], -2.0, v[12:13]
	v_fma_f64 v[6:7], v[51:52], 2.0, v[14:15]
	v_fma_f64 v[32:33], v[38:39], -2.0, v[16:17]
	v_fma_f64 v[34:35], v[34:35], 2.0, v[18:19]
	v_fma_f64 v[36:37], v[45:46], -2.0, v[20:21]
	v_fma_f64 v[38:39], v[47:48], 2.0, v[22:23]
	ds_write_b128 v41, v[8:11] offset:624
	ds_write_b128 v41, v[28:31]
	ds_write_b128 v41, v[12:15] offset:208
	ds_write_b128 v41, v[16:19] offset:832
	ds_write_b128 v41, v[24:27] offset:1248
	ds_write_b128 v41, v[20:23] offset:416
	ds_write_b128 v41, v[32:35] offset:1040
	ds_write_b128 v41, v[4:7] offset:1664
	ds_write_b128 v41, v[36:39] offset:1456
	s_waitcnt lgkmcnt(0)
	s_barrier
	buffer_gl0_inv
	ds_read_b128 v[12:15], v138
	ds_read_b128 v[16:19], v133 offset:416
	ds_read_b128 v[28:31], v133 offset:1872
	;; [unrolled: 1-line block ×7, first 2 shown]
	s_and_saveexec_b32 s1, s0
	s_cbranch_execz .LBB0_17
; %bb.16:
	ds_read_b128 v[4:7], v133 offset:1664
	ds_read_b128 v[0:3], v133 offset:3536
	v_add_nc_u32_e32 v40, 0x68, v60
.LBB0_17:
	s_or_b32 exec_lo, exec_lo, s1
	v_mov_b32_e32 v61, v42
	v_lshlrev_b64 v[41:42], 4, v[60:61]
	v_add_co_u32 v41, s1, s12, v41
	v_add_co_ci_u32_e64 v42, s1, s13, v42, s1
	v_add_co_u32 v53, s1, 0x800, v41
	v_add_co_ci_u32_e64 v54, s1, 0, v42, s1
	s_clause 0x3
	global_load_dwordx4 v[41:44], v[41:42], off offset:1664
	global_load_dwordx4 v[45:48], v[53:54], off offset:32
	;; [unrolled: 1-line block ×4, first 2 shown]
	s_waitcnt vmcnt(0) lgkmcnt(0)
	s_barrier
	buffer_gl0_inv
	v_mul_f64 v[53:54], v[30:31], v[43:44]
	v_mul_f64 v[43:44], v[28:29], v[43:44]
	;; [unrolled: 1-line block ×8, first 2 shown]
	v_fma_f64 v[28:29], v[28:29], v[41:42], -v[53:54]
	v_fma_f64 v[30:31], v[30:31], v[41:42], v[43:44]
	v_fma_f64 v[41:42], v[24:25], v[45:46], -v[65:66]
	v_fma_f64 v[43:44], v[26:27], v[45:46], v[47:48]
	;; [unrolled: 2-line block ×4, first 2 shown]
	v_add_f64 v[24:25], v[12:13], -v[28:29]
	v_add_f64 v[26:27], v[14:15], -v[30:31]
	;; [unrolled: 1-line block ×8, first 2 shown]
	v_lshl_add_u32 v41, v134, 4, v135
	v_fma_f64 v[12:13], v[12:13], 2.0, -v[24:25]
	v_fma_f64 v[14:15], v[14:15], 2.0, -v[26:27]
	;; [unrolled: 1-line block ×8, first 2 shown]
	ds_write_b128 v133, v[24:27] offset:1872
	ds_write_b128 v41, v[28:31] offset:2288
	;; [unrolled: 1-line block ×3, first 2 shown]
	ds_write_b128 v133, v[12:15]
	ds_write_b128 v133, v[16:19] offset:416
	ds_write_b128 v133, v[20:23] offset:832
	ds_write_b128 v133, v[8:11] offset:1248
	ds_write_b128 v41, v[36:39] offset:3120
	s_and_saveexec_b32 s1, s0
	s_cbranch_execz .LBB0_19
; %bb.18:
	v_mov_b32_e32 v41, 0
	v_lshlrev_b64 v[8:9], 4, v[40:41]
	v_add_co_u32 v8, s0, s12, v8
	v_add_co_ci_u32_e64 v9, s0, s13, v9, s0
	global_load_dwordx4 v[8:11], v[8:9], off offset:1664
	s_waitcnt vmcnt(0)
	v_mul_f64 v[12:13], v[0:1], v[10:11]
	v_mul_f64 v[10:11], v[2:3], v[10:11]
	v_fma_f64 v[2:3], v[2:3], v[8:9], v[12:13]
	v_fma_f64 v[0:1], v[0:1], v[8:9], -v[10:11]
	v_add_f64 v[2:3], v[6:7], -v[2:3]
	v_add_f64 v[0:1], v[4:5], -v[0:1]
	v_fma_f64 v[6:7], v[6:7], 2.0, -v[2:3]
	v_fma_f64 v[4:5], v[4:5], 2.0, -v[0:1]
	ds_write_b128 v133, v[4:7] offset:1664
	ds_write_b128 v133, v[0:3] offset:3536
.LBB0_19:
	s_or_b32 exec_lo, exec_lo, s1
	s_waitcnt lgkmcnt(0)
	s_barrier
	buffer_gl0_inv
	s_and_saveexec_b32 s0, vcc_lo
	s_cbranch_execz .LBB0_21
; %bb.20:
	v_mul_lo_u32 v2, s3, v58
	v_mul_lo_u32 v3, s2, v59
	v_mad_u64_u32 v[0:1], null, s2, v58, 0
	v_mov_b32_e32 v61, 0
	v_lshlrev_b64 v[8:9], 4, v[56:57]
	v_lshl_add_u32 v28, v60, 4, v136
	v_add_nc_u32_e32 v10, 26, v60
	v_add_nc_u32_e32 v12, 52, v60
	v_lshlrev_b64 v[14:15], 4, v[60:61]
	v_add3_u32 v1, v1, v3, v2
	v_mov_b32_e32 v11, v61
	v_mov_b32_e32 v13, v61
	v_add_nc_u32_e32 v22, 0x4e, v60
	v_mov_b32_e32 v23, v61
	v_lshlrev_b64 v[16:17], 4, v[0:1]
	ds_read_b128 v[0:3], v28
	ds_read_b128 v[4:7], v28 offset:416
	v_add_nc_u32_e32 v24, 0x68, v60
	v_mov_b32_e32 v25, v61
	v_lshlrev_b64 v[22:23], 4, v[22:23]
	v_add_co_u32 v18, vcc_lo, s10, v16
	v_add_co_ci_u32_e32 v19, vcc_lo, s11, v17, vcc_lo
	v_lshlrev_b64 v[16:17], 4, v[10:11]
	v_add_co_u32 v30, vcc_lo, v18, v8
	v_add_co_ci_u32_e32 v31, vcc_lo, v19, v9, vcc_lo
	;; [unrolled: 3-line block ×3, first 2 shown]
	ds_read_b128 v[8:11], v28 offset:832
	ds_read_b128 v[12:15], v28 offset:1248
	v_add_co_u32 v16, vcc_lo, v30, v16
	v_add_co_ci_u32_e32 v17, vcc_lo, v31, v17, vcc_lo
	v_add_co_u32 v18, vcc_lo, v30, v18
	v_add_co_ci_u32_e32 v19, vcc_lo, v31, v19, vcc_lo
	v_add_co_u32 v22, vcc_lo, v30, v22
	s_waitcnt lgkmcnt(3)
	global_store_dwordx4 v[20:21], v[0:3], off
	s_waitcnt lgkmcnt(2)
	global_store_dwordx4 v[16:17], v[4:7], off
	v_add_nc_u32_e32 v2, 0x82, v60
	v_mov_b32_e32 v3, v61
	v_add_co_ci_u32_e32 v23, vcc_lo, v31, v23, vcc_lo
	v_lshlrev_b64 v[0:1], 4, v[24:25]
	s_waitcnt lgkmcnt(1)
	global_store_dwordx4 v[18:19], v[8:11], off
	s_waitcnt lgkmcnt(0)
	global_store_dwordx4 v[22:23], v[12:15], off
	v_lshlrev_b64 v[8:9], 4, v[2:3]
	v_add_co_u32 v20, vcc_lo, v30, v0
	v_add_nc_u32_e32 v10, 0x9c, v60
	v_mov_b32_e32 v11, v61
	v_add_co_ci_u32_e32 v21, vcc_lo, v31, v1, vcc_lo
	v_add_co_u32 v22, vcc_lo, v30, v8
	ds_read_b128 v[0:3], v28 offset:1664
	ds_read_b128 v[4:7], v28 offset:2080
	v_add_co_ci_u32_e32 v23, vcc_lo, v31, v9, vcc_lo
	v_lshlrev_b64 v[26:27], 4, v[10:11]
	ds_read_b128 v[8:11], v28 offset:2496
	ds_read_b128 v[12:15], v28 offset:2912
	;; [unrolled: 1-line block ×3, first 2 shown]
	v_add_nc_u32_e32 v24, 0xb6, v60
	v_add_nc_u32_e32 v60, 0xd0, v60
	v_add_co_u32 v26, vcc_lo, v30, v26
	v_lshlrev_b64 v[24:25], 4, v[24:25]
	v_lshlrev_b64 v[28:29], 4, v[60:61]
	v_add_co_ci_u32_e32 v27, vcc_lo, v31, v27, vcc_lo
	v_add_co_u32 v24, vcc_lo, v30, v24
	v_add_co_ci_u32_e32 v25, vcc_lo, v31, v25, vcc_lo
	v_add_co_u32 v28, vcc_lo, v30, v28
	v_add_co_ci_u32_e32 v29, vcc_lo, v31, v29, vcc_lo
	s_waitcnt lgkmcnt(4)
	global_store_dwordx4 v[20:21], v[0:3], off
	s_waitcnt lgkmcnt(3)
	global_store_dwordx4 v[22:23], v[4:7], off
	;; [unrolled: 2-line block ×5, first 2 shown]
.LBB0_21:
	s_endpgm
	.section	.rodata,"a",@progbits
	.p2align	6, 0x0
	.amdhsa_kernel fft_rtc_fwd_len234_factors_13_9_2_wgs_52_tpt_26_dp_op_CI_CI_unitstride_sbrr_dirReg
		.amdhsa_group_segment_fixed_size 0
		.amdhsa_private_segment_fixed_size 0
		.amdhsa_kernarg_size 104
		.amdhsa_user_sgpr_count 6
		.amdhsa_user_sgpr_private_segment_buffer 1
		.amdhsa_user_sgpr_dispatch_ptr 0
		.amdhsa_user_sgpr_queue_ptr 0
		.amdhsa_user_sgpr_kernarg_segment_ptr 1
		.amdhsa_user_sgpr_dispatch_id 0
		.amdhsa_user_sgpr_flat_scratch_init 0
		.amdhsa_user_sgpr_private_segment_size 0
		.amdhsa_wavefront_size32 1
		.amdhsa_uses_dynamic_stack 0
		.amdhsa_system_sgpr_private_segment_wavefront_offset 0
		.amdhsa_system_sgpr_workgroup_id_x 1
		.amdhsa_system_sgpr_workgroup_id_y 0
		.amdhsa_system_sgpr_workgroup_id_z 0
		.amdhsa_system_sgpr_workgroup_info 0
		.amdhsa_system_vgpr_workitem_id 0
		.amdhsa_next_free_vgpr 199
		.amdhsa_next_free_sgpr 44
		.amdhsa_reserve_vcc 1
		.amdhsa_reserve_flat_scratch 0
		.amdhsa_float_round_mode_32 0
		.amdhsa_float_round_mode_16_64 0
		.amdhsa_float_denorm_mode_32 3
		.amdhsa_float_denorm_mode_16_64 3
		.amdhsa_dx10_clamp 1
		.amdhsa_ieee_mode 1
		.amdhsa_fp16_overflow 0
		.amdhsa_workgroup_processor_mode 1
		.amdhsa_memory_ordered 1
		.amdhsa_forward_progress 0
		.amdhsa_shared_vgpr_count 0
		.amdhsa_exception_fp_ieee_invalid_op 0
		.amdhsa_exception_fp_denorm_src 0
		.amdhsa_exception_fp_ieee_div_zero 0
		.amdhsa_exception_fp_ieee_overflow 0
		.amdhsa_exception_fp_ieee_underflow 0
		.amdhsa_exception_fp_ieee_inexact 0
		.amdhsa_exception_int_div_zero 0
	.end_amdhsa_kernel
	.text
.Lfunc_end0:
	.size	fft_rtc_fwd_len234_factors_13_9_2_wgs_52_tpt_26_dp_op_CI_CI_unitstride_sbrr_dirReg, .Lfunc_end0-fft_rtc_fwd_len234_factors_13_9_2_wgs_52_tpt_26_dp_op_CI_CI_unitstride_sbrr_dirReg
                                        ; -- End function
	.section	.AMDGPU.csdata,"",@progbits
; Kernel info:
; codeLenInByte = 8304
; NumSgprs: 46
; NumVgprs: 199
; ScratchSize: 0
; MemoryBound: 0
; FloatMode: 240
; IeeeMode: 1
; LDSByteSize: 0 bytes/workgroup (compile time only)
; SGPRBlocks: 5
; VGPRBlocks: 24
; NumSGPRsForWavesPerEU: 46
; NumVGPRsForWavesPerEU: 199
; Occupancy: 4
; WaveLimiterHint : 1
; COMPUTE_PGM_RSRC2:SCRATCH_EN: 0
; COMPUTE_PGM_RSRC2:USER_SGPR: 6
; COMPUTE_PGM_RSRC2:TRAP_HANDLER: 0
; COMPUTE_PGM_RSRC2:TGID_X_EN: 1
; COMPUTE_PGM_RSRC2:TGID_Y_EN: 0
; COMPUTE_PGM_RSRC2:TGID_Z_EN: 0
; COMPUTE_PGM_RSRC2:TIDIG_COMP_CNT: 0
	.text
	.p2alignl 6, 3214868480
	.fill 48, 4, 3214868480
	.type	__hip_cuid_61bf37495594e93,@object ; @__hip_cuid_61bf37495594e93
	.section	.bss,"aw",@nobits
	.globl	__hip_cuid_61bf37495594e93
__hip_cuid_61bf37495594e93:
	.byte	0                               ; 0x0
	.size	__hip_cuid_61bf37495594e93, 1

	.ident	"AMD clang version 19.0.0git (https://github.com/RadeonOpenCompute/llvm-project roc-6.4.0 25133 c7fe45cf4b819c5991fe208aaa96edf142730f1d)"
	.section	".note.GNU-stack","",@progbits
	.addrsig
	.addrsig_sym __hip_cuid_61bf37495594e93
	.amdgpu_metadata
---
amdhsa.kernels:
  - .args:
      - .actual_access:  read_only
        .address_space:  global
        .offset:         0
        .size:           8
        .value_kind:     global_buffer
      - .offset:         8
        .size:           8
        .value_kind:     by_value
      - .actual_access:  read_only
        .address_space:  global
        .offset:         16
        .size:           8
        .value_kind:     global_buffer
      - .actual_access:  read_only
        .address_space:  global
        .offset:         24
        .size:           8
        .value_kind:     global_buffer
      - .actual_access:  read_only
        .address_space:  global
        .offset:         32
        .size:           8
        .value_kind:     global_buffer
      - .offset:         40
        .size:           8
        .value_kind:     by_value
      - .actual_access:  read_only
        .address_space:  global
        .offset:         48
        .size:           8
        .value_kind:     global_buffer
      - .actual_access:  read_only
        .address_space:  global
        .offset:         56
        .size:           8
        .value_kind:     global_buffer
      - .offset:         64
        .size:           4
        .value_kind:     by_value
      - .actual_access:  read_only
        .address_space:  global
        .offset:         72
        .size:           8
        .value_kind:     global_buffer
      - .actual_access:  read_only
        .address_space:  global
        .offset:         80
        .size:           8
        .value_kind:     global_buffer
      - .actual_access:  read_only
        .address_space:  global
        .offset:         88
        .size:           8
        .value_kind:     global_buffer
      - .actual_access:  write_only
        .address_space:  global
        .offset:         96
        .size:           8
        .value_kind:     global_buffer
    .group_segment_fixed_size: 0
    .kernarg_segment_align: 8
    .kernarg_segment_size: 104
    .language:       OpenCL C
    .language_version:
      - 2
      - 0
    .max_flat_workgroup_size: 52
    .name:           fft_rtc_fwd_len234_factors_13_9_2_wgs_52_tpt_26_dp_op_CI_CI_unitstride_sbrr_dirReg
    .private_segment_fixed_size: 0
    .sgpr_count:     46
    .sgpr_spill_count: 0
    .symbol:         fft_rtc_fwd_len234_factors_13_9_2_wgs_52_tpt_26_dp_op_CI_CI_unitstride_sbrr_dirReg.kd
    .uniform_work_group_size: 1
    .uses_dynamic_stack: false
    .vgpr_count:     199
    .vgpr_spill_count: 0
    .wavefront_size: 32
    .workgroup_processor_mode: 1
amdhsa.target:   amdgcn-amd-amdhsa--gfx1030
amdhsa.version:
  - 1
  - 2
...

	.end_amdgpu_metadata
